;; amdgpu-corpus repo=ROCm/rocFFT kind=compiled arch=gfx950 opt=O3
	.text
	.amdgcn_target "amdgcn-amd-amdhsa--gfx950"
	.amdhsa_code_object_version 6
	.protected	fft_rtc_fwd_len850_factors_10_5_17_wgs_85_tpt_85_dp_op_CI_CI_sbrr_dirReg ; -- Begin function fft_rtc_fwd_len850_factors_10_5_17_wgs_85_tpt_85_dp_op_CI_CI_sbrr_dirReg
	.globl	fft_rtc_fwd_len850_factors_10_5_17_wgs_85_tpt_85_dp_op_CI_CI_sbrr_dirReg
	.p2align	8
	.type	fft_rtc_fwd_len850_factors_10_5_17_wgs_85_tpt_85_dp_op_CI_CI_sbrr_dirReg,@function
fft_rtc_fwd_len850_factors_10_5_17_wgs_85_tpt_85_dp_op_CI_CI_sbrr_dirReg: ; @fft_rtc_fwd_len850_factors_10_5_17_wgs_85_tpt_85_dp_op_CI_CI_sbrr_dirReg
; %bb.0:
	s_load_dwordx4 s[12:15], s[0:1], 0x18
	s_load_dwordx4 s[8:11], s[0:1], 0x0
	;; [unrolled: 1-line block ×3, first 2 shown]
	v_mul_u32_u24_e32 v1, 0x304, v0
	v_add_u32_sdwa v6, s2, v1 dst_sel:DWORD dst_unused:UNUSED_PAD src0_sel:DWORD src1_sel:WORD_1
	s_waitcnt lgkmcnt(0)
	s_load_dwordx2 s[18:19], s[12:13], 0x0
	s_load_dwordx2 s[16:17], s[14:15], 0x0
	v_mov_b32_e32 v2, 0
	v_cmp_lt_u64_e64 s[2:3], s[10:11], 2
	v_mov_b32_e32 v7, v2
	s_and_b64 vcc, exec, s[2:3]
	v_mov_b64_e32 v[4:5], 0
	s_cbranch_vccnz .LBB0_8
; %bb.1:
	s_load_dwordx2 s[2:3], s[0:1], 0x10
	s_add_u32 s20, s14, 8
	s_addc_u32 s21, s15, 0
	s_add_u32 s22, s12, 8
	s_addc_u32 s23, s13, 0
	s_waitcnt lgkmcnt(0)
	s_add_u32 s24, s2, 8
	v_mov_b64_e32 v[4:5], 0
	s_addc_u32 s25, s3, 0
	s_mov_b64 s[26:27], 1
	v_mov_b64_e32 v[96:97], v[4:5]
.LBB0_2:                                ; =>This Inner Loop Header: Depth=1
	s_load_dwordx2 s[28:29], s[24:25], 0x0
                                        ; implicit-def: $vgpr98_vgpr99
	s_waitcnt lgkmcnt(0)
	v_or_b32_e32 v3, s29, v7
	v_cmp_ne_u64_e32 vcc, 0, v[2:3]
	s_and_saveexec_b64 s[2:3], vcc
	s_xor_b64 s[30:31], exec, s[2:3]
	s_cbranch_execz .LBB0_4
; %bb.3:                                ;   in Loop: Header=BB0_2 Depth=1
	v_cvt_f32_u32_e32 v1, s28
	v_cvt_f32_u32_e32 v3, s29
	s_sub_u32 s2, 0, s28
	s_subb_u32 s3, 0, s29
	v_fmac_f32_e32 v1, 0x4f800000, v3
	v_rcp_f32_e32 v1, v1
	s_nop 0
	v_mul_f32_e32 v1, 0x5f7ffffc, v1
	v_mul_f32_e32 v3, 0x2f800000, v1
	v_trunc_f32_e32 v3, v3
	v_fmac_f32_e32 v1, 0xcf800000, v3
	v_cvt_u32_f32_e32 v3, v3
	v_cvt_u32_f32_e32 v1, v1
	v_mul_lo_u32 v8, s2, v3
	v_mul_hi_u32 v10, s2, v1
	v_mul_lo_u32 v9, s3, v1
	v_add_u32_e32 v10, v10, v8
	v_mul_lo_u32 v12, s2, v1
	v_add_u32_e32 v13, v10, v9
	v_mul_hi_u32 v8, v1, v12
	v_mul_hi_u32 v11, v1, v13
	v_mul_lo_u32 v10, v1, v13
	v_mov_b32_e32 v9, v2
	v_lshl_add_u64 v[8:9], v[8:9], 0, v[10:11]
	v_mul_hi_u32 v11, v3, v12
	v_mul_lo_u32 v12, v3, v12
	v_add_co_u32_e32 v8, vcc, v8, v12
	v_mul_hi_u32 v10, v3, v13
	s_nop 0
	v_addc_co_u32_e32 v8, vcc, v9, v11, vcc
	v_mov_b32_e32 v9, v2
	s_nop 0
	v_addc_co_u32_e32 v11, vcc, 0, v10, vcc
	v_mul_lo_u32 v10, v3, v13
	v_lshl_add_u64 v[8:9], v[8:9], 0, v[10:11]
	v_add_co_u32_e32 v1, vcc, v1, v8
	v_mul_lo_u32 v10, s2, v1
	s_nop 0
	v_addc_co_u32_e32 v3, vcc, v3, v9, vcc
	v_mul_lo_u32 v8, s2, v3
	v_mul_hi_u32 v9, s2, v1
	v_add_u32_e32 v8, v9, v8
	v_mul_lo_u32 v9, s3, v1
	v_add_u32_e32 v12, v8, v9
	v_mul_hi_u32 v14, v3, v10
	v_mul_lo_u32 v15, v3, v10
	v_mul_hi_u32 v9, v1, v12
	v_mul_lo_u32 v8, v1, v12
	v_mul_hi_u32 v10, v1, v10
	v_mov_b32_e32 v11, v2
	v_lshl_add_u64 v[8:9], v[10:11], 0, v[8:9]
	v_add_co_u32_e32 v8, vcc, v8, v15
	v_mul_hi_u32 v13, v3, v12
	s_nop 0
	v_addc_co_u32_e32 v8, vcc, v9, v14, vcc
	v_mul_lo_u32 v10, v3, v12
	s_nop 0
	v_addc_co_u32_e32 v11, vcc, 0, v13, vcc
	v_mov_b32_e32 v9, v2
	v_lshl_add_u64 v[8:9], v[8:9], 0, v[10:11]
	v_add_co_u32_e32 v1, vcc, v1, v8
	v_mul_hi_u32 v10, v6, v1
	s_nop 0
	v_addc_co_u32_e32 v3, vcc, v3, v9, vcc
	v_mad_u64_u32 v[8:9], s[2:3], v6, v3, 0
	v_mov_b32_e32 v11, v2
	v_lshl_add_u64 v[8:9], v[10:11], 0, v[8:9]
	v_mad_u64_u32 v[12:13], s[2:3], v7, v1, 0
	v_add_co_u32_e32 v1, vcc, v8, v12
	v_mad_u64_u32 v[10:11], s[2:3], v7, v3, 0
	s_nop 0
	v_addc_co_u32_e32 v8, vcc, v9, v13, vcc
	v_mov_b32_e32 v9, v2
	s_nop 0
	v_addc_co_u32_e32 v11, vcc, 0, v11, vcc
	v_lshl_add_u64 v[8:9], v[8:9], 0, v[10:11]
	v_mul_lo_u32 v1, s29, v8
	v_mul_lo_u32 v3, s28, v9
	v_mad_u64_u32 v[10:11], s[2:3], s28, v8, 0
	v_add3_u32 v1, v11, v3, v1
	v_sub_u32_e32 v3, v7, v1
	v_mov_b32_e32 v11, s29
	v_sub_co_u32_e32 v14, vcc, v6, v10
	v_lshl_add_u64 v[12:13], v[8:9], 0, 1
	s_nop 0
	v_subb_co_u32_e64 v3, s[2:3], v3, v11, vcc
	v_subrev_co_u32_e64 v10, s[2:3], s28, v14
	v_subb_co_u32_e32 v1, vcc, v7, v1, vcc
	s_nop 0
	v_subbrev_co_u32_e64 v3, s[2:3], 0, v3, s[2:3]
	v_cmp_le_u32_e64 s[2:3], s29, v3
	v_cmp_le_u32_e32 vcc, s29, v1
	s_nop 0
	v_cndmask_b32_e64 v11, 0, -1, s[2:3]
	v_cmp_le_u32_e64 s[2:3], s28, v10
	s_nop 1
	v_cndmask_b32_e64 v10, 0, -1, s[2:3]
	v_cmp_eq_u32_e64 s[2:3], s29, v3
	s_nop 1
	v_cndmask_b32_e64 v3, v11, v10, s[2:3]
	v_lshl_add_u64 v[10:11], v[8:9], 0, 2
	v_cmp_ne_u32_e64 s[2:3], 0, v3
	s_nop 1
	v_cndmask_b32_e64 v3, v13, v11, s[2:3]
	v_cndmask_b32_e64 v11, 0, -1, vcc
	v_cmp_le_u32_e32 vcc, s28, v14
	s_nop 1
	v_cndmask_b32_e64 v13, 0, -1, vcc
	v_cmp_eq_u32_e32 vcc, s29, v1
	s_nop 1
	v_cndmask_b32_e32 v1, v11, v13, vcc
	v_cmp_ne_u32_e32 vcc, 0, v1
	v_cndmask_b32_e64 v1, v12, v10, s[2:3]
	s_nop 0
	v_cndmask_b32_e32 v99, v9, v3, vcc
	v_cndmask_b32_e32 v98, v8, v1, vcc
.LBB0_4:                                ;   in Loop: Header=BB0_2 Depth=1
	s_andn2_saveexec_b64 s[2:3], s[30:31]
	s_cbranch_execz .LBB0_6
; %bb.5:                                ;   in Loop: Header=BB0_2 Depth=1
	v_cvt_f32_u32_e32 v1, s28
	s_sub_i32 s30, 0, s28
	v_mov_b32_e32 v99, v2
	v_rcp_iflag_f32_e32 v1, v1
	s_nop 0
	v_mul_f32_e32 v1, 0x4f7ffffe, v1
	v_cvt_u32_f32_e32 v1, v1
	v_mul_lo_u32 v3, s30, v1
	v_mul_hi_u32 v3, v1, v3
	v_add_u32_e32 v1, v1, v3
	v_mul_hi_u32 v1, v6, v1
	v_mul_lo_u32 v3, v1, s28
	v_sub_u32_e32 v3, v6, v3
	v_add_u32_e32 v8, 1, v1
	v_subrev_u32_e32 v9, s28, v3
	v_cmp_le_u32_e32 vcc, s28, v3
	s_nop 1
	v_cndmask_b32_e32 v3, v3, v9, vcc
	v_cndmask_b32_e32 v1, v1, v8, vcc
	v_add_u32_e32 v8, 1, v1
	v_cmp_le_u32_e32 vcc, s28, v3
	s_nop 1
	v_cndmask_b32_e32 v98, v1, v8, vcc
.LBB0_6:                                ;   in Loop: Header=BB0_2 Depth=1
	s_or_b64 exec, exec, s[2:3]
	v_mad_u64_u32 v[8:9], s[2:3], v98, s28, 0
	s_load_dwordx2 s[2:3], s[22:23], 0x0
	v_mul_lo_u32 v1, v99, s28
	v_mul_lo_u32 v3, v98, s29
	s_load_dwordx2 s[28:29], s[20:21], 0x0
	s_add_u32 s26, s26, 1
	v_add3_u32 v1, v9, v3, v1
	v_sub_co_u32_e32 v3, vcc, v6, v8
	s_addc_u32 s27, s27, 0
	s_nop 0
	v_subb_co_u32_e32 v1, vcc, v7, v1, vcc
	s_add_u32 s20, s20, 8
	s_waitcnt lgkmcnt(0)
	v_mul_lo_u32 v6, s2, v1
	v_mul_lo_u32 v7, s3, v3
	v_mad_u64_u32 v[4:5], s[2:3], s2, v3, v[4:5]
	s_addc_u32 s21, s21, 0
	v_add3_u32 v5, v7, v5, v6
	v_mul_lo_u32 v1, s28, v1
	v_mul_lo_u32 v6, s29, v3
	v_mad_u64_u32 v[96:97], s[2:3], s28, v3, v[96:97]
	s_add_u32 s22, s22, 8
	v_add3_u32 v97, v6, v97, v1
	s_addc_u32 s23, s23, 0
	v_mov_b64_e32 v[6:7], s[10:11]
	s_add_u32 s24, s24, 8
	v_cmp_ge_u64_e32 vcc, s[26:27], v[6:7]
	s_addc_u32 s25, s25, 0
	s_cbranch_vccnz .LBB0_9
; %bb.7:                                ;   in Loop: Header=BB0_2 Depth=1
	v_mov_b64_e32 v[6:7], v[98:99]
	s_branch .LBB0_2
.LBB0_8:
	v_mov_b64_e32 v[96:97], v[4:5]
	v_mov_b64_e32 v[98:99], v[6:7]
.LBB0_9:
	s_load_dwordx2 s[0:1], s[0:1], 0x28
	s_lshl_b64 s[2:3], s[10:11], 3
	s_add_u32 s20, s14, s2
	s_addc_u32 s21, s15, s3
                                        ; implicit-def: $vgpr188
                                        ; implicit-def: $vgpr44
	s_waitcnt lgkmcnt(0)
	v_cmp_gt_u64_e32 vcc, s[0:1], v[98:99]
	v_cmp_le_u64_e64 s[0:1], s[0:1], v[98:99]
	s_and_saveexec_b64 s[10:11], s[0:1]
	s_xor_b64 s[0:1], exec, s[10:11]
; %bb.10:
	s_mov_b32 s10, 0x3030304
	v_mul_hi_u32 v1, v0, s10
	v_mul_u32_u24_e32 v1, 0x55, v1
	v_sub_u32_e32 v188, v0, v1
	v_add_u32_e32 v44, 0x55, v188
                                        ; implicit-def: $vgpr0
                                        ; implicit-def: $vgpr4_vgpr5
; %bb.11:
	s_or_saveexec_b64 s[0:1], s[0:1]
                                        ; implicit-def: $vgpr26_vgpr27
                                        ; implicit-def: $vgpr38_vgpr39
                                        ; implicit-def: $vgpr18_vgpr19
                                        ; implicit-def: $vgpr34_vgpr35
                                        ; implicit-def: $vgpr14_vgpr15
                                        ; implicit-def: $vgpr30_vgpr31
                                        ; implicit-def: $vgpr10_vgpr11
                                        ; implicit-def: $vgpr22_vgpr23
                                        ; implicit-def: $vgpr6_vgpr7
                                        ; implicit-def: $vgpr2_vgpr3
	s_xor_b64 exec, exec, s[0:1]
	s_cbranch_execz .LBB0_13
; %bb.12:
	s_add_u32 s2, s12, s2
	s_addc_u32 s3, s13, s3
	s_load_dwordx2 s[2:3], s[2:3], 0x0
	s_mov_b32 s10, 0x3030304
	s_waitcnt lgkmcnt(0)
	v_mul_lo_u32 v1, s3, v98
	v_mul_lo_u32 v6, s2, v99
	v_mad_u64_u32 v[2:3], s[2:3], s2, v98, 0
	v_add3_u32 v3, v3, v6, v1
	v_mul_hi_u32 v1, v0, s10
	v_mul_u32_u24_e32 v1, 0x55, v1
	v_sub_u32_e32 v188, v0, v1
	v_mad_u64_u32 v[0:1], s[2:3], s18, v188, 0
	v_mov_b32_e32 v6, v1
	v_mad_u64_u32 v[6:7], s[2:3], s19, v188, v[6:7]
	v_lshl_add_u64 v[2:3], v[2:3], 4, s[4:5]
	v_mov_b32_e32 v1, v6
	v_lshl_add_u64 v[24:25], v[4:5], 4, v[2:3]
	v_add_u32_e32 v44, 0x55, v188
	v_lshl_add_u64 v[8:9], v[0:1], 4, v[24:25]
	v_mad_u64_u32 v[0:1], s[2:3], s18, v44, 0
	v_mov_b32_e32 v2, v1
	v_mad_u64_u32 v[2:3], s[2:3], s19, v44, v[2:3]
	v_mov_b32_e32 v1, v2
	v_lshl_add_u64 v[10:11], v[0:1], 4, v[24:25]
	global_load_dwordx4 v[0:3], v[8:9], off
	global_load_dwordx4 v[4:7], v[10:11], off
	v_add_u32_e32 v11, 0xaa, v188
	v_mad_u64_u32 v[8:9], s[2:3], s18, v11, 0
	v_mov_b32_e32 v10, v9
	v_mad_u64_u32 v[10:11], s[2:3], s19, v11, v[10:11]
	v_mov_b32_e32 v9, v10
	v_add_u32_e32 v11, 0xff, v188
	v_lshl_add_u64 v[12:13], v[8:9], 4, v[24:25]
	v_mad_u64_u32 v[8:9], s[2:3], s18, v11, 0
	v_mov_b32_e32 v10, v9
	v_mad_u64_u32 v[10:11], s[2:3], s19, v11, v[10:11]
	v_mov_b32_e32 v9, v10
	v_lshl_add_u64 v[14:15], v[8:9], 4, v[24:25]
	global_load_dwordx4 v[20:23], v[12:13], off
	global_load_dwordx4 v[8:11], v[14:15], off
	v_add_u32_e32 v15, 0x154, v188
	v_mad_u64_u32 v[12:13], s[2:3], s18, v15, 0
	v_mov_b32_e32 v14, v13
	v_mad_u64_u32 v[14:15], s[2:3], s19, v15, v[14:15]
	v_mov_b32_e32 v13, v14
	;; [unrolled: 14-line block ×4, first 2 shown]
	v_add_u32_e32 v37, 0x2fd, v188
	v_lshl_add_u64 v[40:41], v[26:27], 4, v[24:25]
	v_mad_u64_u32 v[26:27], s[2:3], s18, v37, 0
	v_mov_b32_e32 v36, v27
	v_mad_u64_u32 v[36:37], s[2:3], s19, v37, v[36:37]
	v_mov_b32_e32 v27, v36
	v_lshl_add_u64 v[42:43], v[26:27], 4, v[24:25]
	global_load_dwordx4 v[36:39], v[40:41], off
	global_load_dwordx4 v[24:27], v[42:43], off
.LBB0_13:
	s_or_b64 exec, exec, s[0:1]
	s_waitcnt vmcnt(3)
	v_add_f64 v[40:41], v[32:33], v[28:29]
	s_mov_b32 s2, 0x134454ff
	v_fma_f64 v[40:41], -0.5, v[40:41], v[0:1]
	s_waitcnt vmcnt(1)
	v_add_f64 v[48:49], v[22:23], -v[38:39]
	s_mov_b32 s3, 0x3fee6f0e
	s_mov_b32 s0, 0x4755a5e
	;; [unrolled: 1-line block ×4, first 2 shown]
	v_fma_f64 v[42:43], s[2:3], v[48:49], v[40:41]
	v_add_f64 v[50:51], v[30:31], -v[34:35]
	s_mov_b32 s1, 0x3fe2cf23
	v_add_f64 v[52:53], v[20:21], -v[28:29]
	v_add_f64 v[54:55], v[36:37], -v[32:33]
	s_mov_b32 s10, 0x372fe950
	v_fmac_f64_e32 v[40:41], s[12:13], v[48:49]
	s_mov_b32 s15, 0xbfe2cf23
	s_mov_b32 s14, s0
	v_fmac_f64_e32 v[42:43], s[0:1], v[50:51]
	v_add_f64 v[52:53], v[54:55], v[52:53]
	s_mov_b32 s11, 0x3fd3c6ef
	v_fmac_f64_e32 v[40:41], s[14:15], v[50:51]
	v_fmac_f64_e32 v[42:43], s[10:11], v[52:53]
	v_fmac_f64_e32 v[40:41], s[10:11], v[52:53]
	v_add_f64 v[52:53], v[36:37], v[20:21]
	v_add_f64 v[46:47], v[20:21], v[0:1]
	v_fmac_f64_e32 v[0:1], -0.5, v[52:53]
	v_fma_f64 v[52:53], s[12:13], v[50:51], v[0:1]
	v_add_f64 v[54:55], v[28:29], -v[20:21]
	v_add_f64 v[56:57], v[32:33], -v[36:37]
	v_fmac_f64_e32 v[0:1], s[2:3], v[50:51]
	v_fmac_f64_e32 v[52:53], s[0:1], v[48:49]
	v_add_f64 v[54:55], v[56:57], v[54:55]
	v_fmac_f64_e32 v[0:1], s[14:15], v[48:49]
	v_add_f64 v[48:49], v[34:35], v[30:31]
	v_fmac_f64_e32 v[52:53], s[10:11], v[54:55]
	v_fmac_f64_e32 v[0:1], s[10:11], v[54:55]
	v_fma_f64 v[48:49], -0.5, v[48:49], v[2:3]
	v_add_f64 v[20:21], v[20:21], -v[36:37]
	v_add_f64 v[54:55], v[22:23], -v[30:31]
	;; [unrolled: 1-line block ×3, first 2 shown]
	v_fma_f64 v[50:51], s[12:13], v[20:21], v[48:49]
	v_add_f64 v[54:55], v[56:57], v[54:55]
	v_add_f64 v[56:57], v[28:29], -v[32:33]
	v_fmac_f64_e32 v[48:49], s[2:3], v[20:21]
	v_fmac_f64_e32 v[50:51], s[14:15], v[56:57]
	;; [unrolled: 1-line block ×3, first 2 shown]
	v_add_f64 v[58:59], v[38:39], v[22:23]
	v_fmac_f64_e32 v[50:51], s[10:11], v[54:55]
	v_fmac_f64_e32 v[48:49], s[10:11], v[54:55]
	v_add_f64 v[54:55], v[22:23], v[2:3]
	v_fmac_f64_e32 v[2:3], -0.5, v[58:59]
	v_add_f64 v[28:29], v[28:29], v[46:47]
	v_add_f64 v[28:29], v[32:33], v[28:29]
	v_add_f64 v[32:33], v[30:31], v[54:55]
	v_add_f64 v[22:23], v[30:31], -v[22:23]
	v_fma_f64 v[46:47], s[2:3], v[56:57], v[2:3]
	v_add_f64 v[30:31], v[34:35], -v[38:39]
	v_fmac_f64_e32 v[2:3], s[12:13], v[56:57]
	v_fmac_f64_e32 v[46:47], s[14:15], v[20:21]
	v_add_f64 v[22:23], v[30:31], v[22:23]
	v_fmac_f64_e32 v[2:3], s[0:1], v[20:21]
	v_fmac_f64_e32 v[46:47], s[10:11], v[22:23]
	;; [unrolled: 1-line block ×3, first 2 shown]
	v_add_f64 v[22:23], v[16:17], v[12:13]
	v_add_f64 v[32:33], v[34:35], v[32:33]
	v_fma_f64 v[30:31], -0.5, v[22:23], v[4:5]
	s_waitcnt vmcnt(0)
	v_add_f64 v[22:23], v[10:11], -v[26:27]
	v_add_f64 v[28:29], v[36:37], v[28:29]
	v_add_f64 v[32:33], v[38:39], v[32:33]
	v_fma_f64 v[34:35], s[2:3], v[22:23], v[30:31]
	v_add_f64 v[36:37], v[14:15], -v[18:19]
	v_add_f64 v[38:39], v[8:9], -v[12:13]
	;; [unrolled: 1-line block ×3, first 2 shown]
	v_fmac_f64_e32 v[30:31], s[12:13], v[22:23]
	v_fmac_f64_e32 v[34:35], s[0:1], v[36:37]
	v_add_f64 v[38:39], v[54:55], v[38:39]
	v_fmac_f64_e32 v[30:31], s[14:15], v[36:37]
	v_fmac_f64_e32 v[34:35], s[10:11], v[38:39]
	v_fmac_f64_e32 v[30:31], s[10:11], v[38:39]
	v_add_f64 v[38:39], v[24:25], v[8:9]
	v_add_f64 v[20:21], v[8:9], v[4:5]
	v_fmac_f64_e32 v[4:5], -0.5, v[38:39]
	v_fma_f64 v[38:39], s[12:13], v[36:37], v[4:5]
	v_add_f64 v[54:55], v[12:13], -v[8:9]
	v_add_f64 v[56:57], v[16:17], -v[24:25]
	v_fmac_f64_e32 v[4:5], s[2:3], v[36:37]
	v_fmac_f64_e32 v[38:39], s[0:1], v[22:23]
	v_add_f64 v[54:55], v[56:57], v[54:55]
	v_fmac_f64_e32 v[4:5], s[14:15], v[22:23]
	v_add_f64 v[22:23], v[18:19], v[14:15]
	v_fmac_f64_e32 v[38:39], s[10:11], v[54:55]
	v_fmac_f64_e32 v[4:5], s[10:11], v[54:55]
	v_fma_f64 v[36:37], -0.5, v[22:23], v[6:7]
	v_add_f64 v[8:9], v[8:9], -v[24:25]
	v_add_f64 v[54:55], v[10:11], -v[14:15]
	;; [unrolled: 1-line block ×3, first 2 shown]
	v_fma_f64 v[22:23], s[12:13], v[8:9], v[36:37]
	v_add_f64 v[54:55], v[56:57], v[54:55]
	v_add_f64 v[56:57], v[12:13], -v[16:17]
	v_fmac_f64_e32 v[36:37], s[2:3], v[8:9]
	v_fmac_f64_e32 v[22:23], s[14:15], v[56:57]
	v_fmac_f64_e32 v[36:37], s[0:1], v[56:57]
	v_add_f64 v[12:13], v[12:13], v[20:21]
	v_fmac_f64_e32 v[22:23], s[10:11], v[54:55]
	v_fmac_f64_e32 v[36:37], s[10:11], v[54:55]
	v_add_f64 v[54:55], v[10:11], v[6:7]
	v_add_f64 v[12:13], v[16:17], v[12:13]
	v_add_f64 v[58:59], v[26:27], v[10:11]
	v_add_f64 v[20:21], v[24:25], v[12:13]
	v_add_f64 v[12:13], v[14:15], v[54:55]
	v_fmac_f64_e32 v[6:7], -0.5, v[58:59]
	v_add_f64 v[12:13], v[18:19], v[12:13]
	v_add_f64 v[24:25], v[26:27], v[12:13]
	v_add_f64 v[10:11], v[14:15], -v[10:11]
	v_fma_f64 v[14:15], s[2:3], v[56:57], v[6:7]
	v_add_f64 v[12:13], v[18:19], -v[26:27]
	v_fmac_f64_e32 v[6:7], s[12:13], v[56:57]
	v_fmac_f64_e32 v[14:15], s[14:15], v[8:9]
	v_add_f64 v[10:11], v[12:13], v[10:11]
	v_fmac_f64_e32 v[6:7], s[0:1], v[8:9]
	v_fmac_f64_e32 v[14:15], s[10:11], v[10:11]
	;; [unrolled: 1-line block ×3, first 2 shown]
	s_mov_b32 s18, 0x9b97f4a8
	v_mul_f64 v[10:11], v[4:5], s[10:11]
	s_mov_b32 s19, 0x3fe9e377
	v_fma_f64 v[58:59], v[6:7], s[2:3], -v[10:11]
	v_mul_f64 v[6:7], v[6:7], s[10:11]
	v_fma_f64 v[60:61], v[4:5], s[12:13], -v[6:7]
	v_mul_f64 v[6:7], v[30:31], s[18:19]
	v_mul_f64 v[54:55], v[34:35], s[18:19]
	;; [unrolled: 1-line block ×3, first 2 shown]
	v_fma_f64 v[62:63], v[36:37], s[0:1], -v[6:7]
	v_fmac_f64_e32 v[54:55], s[0:1], v[22:23]
	v_mul_f64 v[56:57], v[38:39], s[10:11]
	v_fmac_f64_e32 v[34:35], s[18:19], v[22:23]
	v_mul_f64 v[38:39], v[38:39], s[12:13]
	v_add_f64 v[10:11], v[24:25], v[32:33]
	v_add_f64 v[22:23], v[32:33], -v[24:25]
	v_add_f64 v[24:25], v[40:41], v[62:63]
	v_mul_f64 v[26:27], v[36:37], s[18:19]
	v_add_f64 v[36:37], v[40:41], -v[62:63]
	v_mul_u32_u24_e32 v40, 10, v188
	v_add_f64 v[8:9], v[20:21], v[28:29]
	v_fmac_f64_e32 v[56:57], s[2:3], v[14:15]
	v_add_f64 v[4:5], v[0:1], v[58:59]
	v_fmac_f64_e32 v[38:39], s[10:11], v[14:15]
	v_fma_f64 v[64:65], v[30:31], s[14:15], -v[26:27]
	v_add_f64 v[0:1], v[0:1], -v[58:59]
	v_lshl_add_u32 v40, v40, 4, 0
	s_movk_i32 s18, 0xcd
	s_load_dwordx2 s[4:5], s[20:21], 0x0
	v_add_f64 v[12:13], v[42:43], v[54:55]
	v_add_f64 v[16:17], v[52:53], v[56:57]
	v_add_f64 v[20:21], v[28:29], -v[20:21]
	v_add_f64 v[14:15], v[50:51], v[34:35]
	v_add_f64 v[18:19], v[46:47], v[38:39]
	;; [unrolled: 1-line block ×4, first 2 shown]
	v_add_f64 v[28:29], v[42:43], -v[54:55]
	v_add_f64 v[32:33], v[52:53], -v[56:57]
	v_add_f64 v[30:31], v[50:51], -v[34:35]
	v_add_f64 v[34:35], v[46:47], -v[38:39]
	v_add_f64 v[2:3], v[2:3], -v[60:61]
	v_add_f64 v[38:39], v[48:49], -v[64:65]
	ds_write_b128 v40, v[8:11]
	ds_write_b128 v40, v[12:15] offset:16
	ds_write_b128 v40, v[16:19] offset:32
	;; [unrolled: 1-line block ×9, first 2 shown]
	v_mul_lo_u16_sdwa v0, v188, s18 dst_sel:DWORD dst_unused:UNUSED_PAD src0_sel:BYTE_0 src1_sel:DWORD
	v_lshrrev_b16_e32 v65, 11, v0
	v_mul_lo_u16_e32 v0, 10, v65
	v_sub_u16_e32 v68, v188, v0
	v_mov_b32_e32 v4, 6
	v_lshlrev_b32_sdwa v5, v4, v68 dst_sel:DWORD dst_unused:UNUSED_PAD src0_sel:DWORD src1_sel:BYTE_0
	s_waitcnt lgkmcnt(0)
	s_barrier
	global_load_dwordx4 v[0:3], v5, s[8:9]
	global_load_dwordx4 v[8:11], v5, s[8:9] offset:16
	global_load_dwordx4 v[12:15], v5, s[8:9] offset:32
	global_load_dwordx4 v[16:19], v5, s[8:9] offset:48
	v_mul_lo_u16_sdwa v5, v44, s18 dst_sel:DWORD dst_unused:UNUSED_PAD src0_sel:BYTE_0 src1_sel:DWORD
	v_lshrrev_b16_e32 v69, 11, v5
	v_mul_lo_u16_e32 v5, 10, v69
	v_sub_u16_e32 v70, v44, v5
	v_lshlrev_b32_sdwa v4, v4, v70 dst_sel:DWORD dst_unused:UNUSED_PAD src0_sel:DWORD src1_sel:BYTE_0
	global_load_dwordx4 v[20:23], v4, s[8:9]
	global_load_dwordx4 v[24:27], v4, s[8:9] offset:16
	global_load_dwordx4 v[28:31], v4, s[8:9] offset:32
	global_load_dwordx4 v[32:35], v4, s[8:9] offset:48
	s_movk_i32 s18, 0xff70
	v_mad_i32_i24 v64, v188, s18, v40
	ds_read_b128 v[36:39], v64 offset:2720
	ds_read_b128 v[40:43], v64 offset:5440
	;; [unrolled: 1-line block ×3, first 2 shown]
	ds_read_b128 v[4:7], v64
	s_waitcnt vmcnt(7) lgkmcnt(3)
	v_mul_f64 v[50:51], v[38:39], v[2:3]
	v_mul_f64 v[52:53], v[36:37], v[2:3]
	v_fma_f64 v[50:51], v[36:37], v[0:1], -v[50:51]
	v_fmac_f64_e32 v[52:53], v[38:39], v[0:1]
	ds_read_b128 v[0:3], v64 offset:8160
	ds_read_b128 v[36:39], v64 offset:6800
	s_waitcnt vmcnt(6) lgkmcnt(4)
	v_mul_f64 v[54:55], v[42:43], v[10:11]
	v_mul_f64 v[56:57], v[40:41], v[10:11]
	v_fma_f64 v[54:55], v[40:41], v[8:9], -v[54:55]
	v_fmac_f64_e32 v[56:57], v[42:43], v[8:9]
	ds_read_b128 v[8:11], v64 offset:10880
	s_waitcnt vmcnt(5) lgkmcnt(2)
	v_mul_f64 v[40:41], v[2:3], v[14:15]
	v_mul_f64 v[60:61], v[0:1], v[14:15]
	v_fma_f64 v[58:59], v[0:1], v[12:13], -v[40:41]
	v_fmac_f64_e32 v[60:61], v[2:3], v[12:13]
	ds_read_b128 v[0:3], v64 offset:9520
	s_waitcnt vmcnt(4) lgkmcnt(1)
	v_mul_f64 v[12:13], v[10:11], v[18:19]
	v_fma_f64 v[14:15], v[8:9], v[16:17], -v[12:13]
	v_mul_f64 v[62:63], v[8:9], v[18:19]
	s_waitcnt vmcnt(3)
	v_mul_f64 v[8:9], v[48:49], v[22:23]
	v_fma_f64 v[66:67], v[46:47], v[20:21], -v[8:9]
	s_waitcnt vmcnt(2)
	v_mul_f64 v[8:9], v[38:39], v[26:27]
	v_mul_f64 v[40:41], v[46:47], v[22:23]
	v_fma_f64 v[46:47], v[36:37], v[24:25], -v[8:9]
	s_waitcnt vmcnt(1) lgkmcnt(0)
	v_mul_f64 v[8:9], v[2:3], v[30:31]
	v_fmac_f64_e32 v[62:63], v[10:11], v[16:17]
	v_mul_f64 v[42:43], v[36:37], v[26:27]
	v_fma_f64 v[26:27], v[0:1], v[28:29], -v[8:9]
	ds_read_b128 v[8:11], v64 offset:12240
	v_fmac_f64_e32 v[40:41], v[48:49], v[20:21]
	v_mul_f64 v[48:49], v[0:1], v[30:31]
	v_fmac_f64_e32 v[48:49], v[2:3], v[28:29]
	v_lshl_add_u32 v0, v44, 4, 0
	ds_read_b128 v[20:23], v0
	v_add_f64 v[2:3], v[54:55], v[58:59]
	s_waitcnt vmcnt(0) lgkmcnt(1)
	v_mul_f64 v[0:1], v[10:11], v[34:35]
	v_mul_f64 v[44:45], v[8:9], v[34:35]
	v_fma_f64 v[16:17], -0.5, v[2:3], v[4:5]
	v_add_f64 v[2:3], v[52:53], -v[62:63]
	v_fmac_f64_e32 v[42:43], v[38:39], v[24:25]
	v_fma_f64 v[38:39], v[8:9], v[32:33], -v[0:1]
	v_fmac_f64_e32 v[44:45], v[10:11], v[32:33]
	v_fma_f64 v[8:9], s[2:3], v[2:3], v[16:17]
	v_add_f64 v[10:11], v[50:51], -v[54:55]
	v_add_f64 v[12:13], v[14:15], -v[58:59]
	;; [unrolled: 1-line block ×3, first 2 shown]
	v_fmac_f64_e32 v[16:17], s[12:13], v[2:3]
	v_add_f64 v[10:11], v[10:11], v[12:13]
	v_fmac_f64_e32 v[8:9], s[0:1], v[18:19]
	v_fmac_f64_e32 v[16:17], s[14:15], v[18:19]
	;; [unrolled: 1-line block ×4, first 2 shown]
	v_add_f64 v[10:11], v[50:51], v[14:15]
	v_add_f64 v[0:1], v[4:5], v[50:51]
	v_fmac_f64_e32 v[4:5], -0.5, v[10:11]
	v_add_f64 v[10:11], v[54:55], -v[50:51]
	v_add_f64 v[12:13], v[58:59], -v[14:15]
	v_add_f64 v[10:11], v[10:11], v[12:13]
	v_fma_f64 v[12:13], s[12:13], v[18:19], v[4:5]
	v_fmac_f64_e32 v[4:5], s[2:3], v[18:19]
	v_fmac_f64_e32 v[12:13], s[0:1], v[2:3]
	;; [unrolled: 1-line block ×3, first 2 shown]
	v_add_f64 v[0:1], v[0:1], v[54:55]
	v_add_f64 v[0:1], v[0:1], v[58:59]
	v_fmac_f64_e32 v[12:13], s[10:11], v[10:11]
	v_fmac_f64_e32 v[4:5], s[10:11], v[10:11]
	v_add_f64 v[10:11], v[56:57], v[60:61]
	v_add_f64 v[0:1], v[0:1], v[14:15]
	v_fma_f64 v[18:19], -0.5, v[10:11], v[6:7]
	v_add_f64 v[24:25], v[50:51], -v[14:15]
	v_add_f64 v[10:11], v[52:53], -v[56:57]
	;; [unrolled: 1-line block ×4, first 2 shown]
	v_add_f64 v[14:15], v[10:11], v[14:15]
	v_fma_f64 v[10:11], s[12:13], v[24:25], v[18:19]
	v_fmac_f64_e32 v[18:19], s[2:3], v[24:25]
	v_fmac_f64_e32 v[10:11], s[14:15], v[28:29]
	;; [unrolled: 1-line block ×5, first 2 shown]
	v_add_f64 v[14:15], v[52:53], v[62:63]
	v_add_f64 v[2:3], v[6:7], v[52:53]
	v_fmac_f64_e32 v[6:7], -0.5, v[14:15]
	v_fma_f64 v[14:15], s[2:3], v[28:29], v[6:7]
	v_add_f64 v[30:31], v[56:57], -v[52:53]
	v_add_f64 v[32:33], v[60:61], -v[62:63]
	v_fmac_f64_e32 v[6:7], s[12:13], v[28:29]
	v_fmac_f64_e32 v[14:15], s[14:15], v[24:25]
	v_add_f64 v[30:31], v[30:31], v[32:33]
	v_fmac_f64_e32 v[6:7], s[0:1], v[24:25]
	v_add_f64 v[24:25], v[46:47], v[26:27]
	v_fmac_f64_e32 v[14:15], s[10:11], v[30:31]
	v_fmac_f64_e32 v[6:7], s[10:11], v[30:31]
	s_waitcnt lgkmcnt(0)
	v_fma_f64 v[32:33], -0.5, v[24:25], v[20:21]
	v_add_f64 v[28:29], v[40:41], -v[44:45]
	v_add_f64 v[30:31], v[66:67], -v[46:47]
	;; [unrolled: 1-line block ×3, first 2 shown]
	v_fma_f64 v[24:25], s[2:3], v[28:29], v[32:33]
	v_add_f64 v[30:31], v[30:31], v[34:35]
	v_add_f64 v[34:35], v[42:43], -v[48:49]
	v_fmac_f64_e32 v[32:33], s[12:13], v[28:29]
	v_fmac_f64_e32 v[24:25], s[0:1], v[34:35]
	;; [unrolled: 1-line block ×3, first 2 shown]
	v_add_f64 v[36:37], v[66:67], v[38:39]
	v_fmac_f64_e32 v[24:25], s[10:11], v[30:31]
	v_fmac_f64_e32 v[32:33], s[10:11], v[30:31]
	v_add_f64 v[30:31], v[20:21], v[66:67]
	v_fmac_f64_e32 v[20:21], -0.5, v[36:37]
	v_add_f64 v[36:37], v[46:47], -v[66:67]
	v_add_f64 v[50:51], v[26:27], -v[38:39]
	v_add_f64 v[50:51], v[36:37], v[50:51]
	v_fma_f64 v[36:37], s[12:13], v[34:35], v[20:21]
	v_fmac_f64_e32 v[20:21], s[2:3], v[34:35]
	v_fmac_f64_e32 v[36:37], s[0:1], v[28:29]
	;; [unrolled: 1-line block ×3, first 2 shown]
	v_add_f64 v[28:29], v[30:31], v[46:47]
	v_add_f64 v[28:29], v[28:29], v[26:27]
	;; [unrolled: 1-line block ×3, first 2 shown]
	v_fmac_f64_e32 v[36:37], s[10:11], v[50:51]
	v_fmac_f64_e32 v[20:21], s[10:11], v[50:51]
	v_add_f64 v[28:29], v[28:29], v[38:39]
	v_fma_f64 v[34:35], -0.5, v[34:35], v[22:23]
	v_add_f64 v[50:51], v[66:67], -v[38:39]
	v_add_f64 v[46:47], v[46:47], -v[26:27]
	;; [unrolled: 1-line block ×4, first 2 shown]
	v_add_f64 v[38:39], v[26:27], v[38:39]
	v_fma_f64 v[26:27], s[12:13], v[50:51], v[34:35]
	v_fmac_f64_e32 v[34:35], s[2:3], v[50:51]
	v_fmac_f64_e32 v[26:27], s[14:15], v[46:47]
	;; [unrolled: 1-line block ×5, first 2 shown]
	v_add_f64 v[38:39], v[40:41], v[44:45]
	v_add_f64 v[30:31], v[22:23], v[40:41]
	v_fmac_f64_e32 v[22:23], -0.5, v[38:39]
	v_add_f64 v[30:31], v[30:31], v[42:43]
	v_fma_f64 v[38:39], s[2:3], v[46:47], v[22:23]
	v_add_f64 v[40:41], v[42:43], -v[40:41]
	v_add_f64 v[42:43], v[48:49], -v[44:45]
	v_fmac_f64_e32 v[22:23], s[12:13], v[46:47]
	v_fmac_f64_e32 v[38:39], s[14:15], v[50:51]
	v_add_f64 v[40:41], v[40:41], v[42:43]
	v_fmac_f64_e32 v[22:23], s[0:1], v[50:51]
	v_add_f64 v[2:3], v[2:3], v[56:57]
	v_fmac_f64_e32 v[38:39], s[10:11], v[40:41]
	v_fmac_f64_e32 v[22:23], s[10:11], v[40:41]
	v_mov_b32_e32 v41, 4
	v_add_f64 v[2:3], v[2:3], v[60:61]
	v_mul_u32_u24_e32 v40, 0x320, v65
	v_lshlrev_b32_sdwa v42, v41, v68 dst_sel:DWORD dst_unused:UNUSED_PAD src0_sel:DWORD src1_sel:BYTE_0
	v_add_f64 v[2:3], v[2:3], v[62:63]
	v_add3_u32 v40, 0, v40, v42
	v_add_f64 v[30:31], v[30:31], v[48:49]
	s_barrier
	ds_write_b128 v40, v[0:3]
	ds_write_b128 v40, v[8:11] offset:160
	ds_write_b128 v40, v[12:15] offset:320
	;; [unrolled: 1-line block ×4, first 2 shown]
	v_mul_u32_u24_e32 v40, 0x320, v69
	v_lshlrev_b32_sdwa v41, v41, v70 dst_sel:DWORD dst_unused:UNUSED_PAD src0_sel:DWORD src1_sel:BYTE_0
	v_add_f64 v[30:31], v[30:31], v[44:45]
	v_add3_u32 v40, 0, v40, v41
	v_cmp_gt_u32_e64 s[0:1], 50, v188
	ds_write_b128 v40, v[28:31]
	ds_write_b128 v40, v[24:27] offset:160
	ds_write_b128 v40, v[36:39] offset:320
	;; [unrolled: 1-line block ×4, first 2 shown]
	s_waitcnt lgkmcnt(0)
	s_barrier
	s_waitcnt lgkmcnt(0)
                                        ; implicit-def: $vgpr66_vgpr67
                                        ; implicit-def: $vgpr62_vgpr63
                                        ; implicit-def: $vgpr58_vgpr59
                                        ; implicit-def: $vgpr54_vgpr55
                                        ; implicit-def: $vgpr50_vgpr51
                                        ; implicit-def: $vgpr46_vgpr47
                                        ; implicit-def: $vgpr42_vgpr43
	s_and_saveexec_b64 s[2:3], s[0:1]
	s_cbranch_execz .LBB0_15
; %bb.14:
	ds_read_b128 v[0:3], v64
	ds_read_b128 v[8:11], v64 offset:800
	ds_read_b128 v[12:15], v64 offset:1600
	;; [unrolled: 1-line block ×16, first 2 shown]
.LBB0_15:
	s_or_b64 exec, exec, s[2:3]
	v_cmp_gt_u32_e64 s[2:3], 50, v188
	s_and_b64 s[2:3], vcc, s[2:3]
	s_and_saveexec_b64 s[10:11], s[2:3]
	s_cbranch_execz .LBB0_17
; %bb.16:
	v_lshlrev_b32_e32 v68, 4, v188
	v_add_u32_e32 v69, 0xfffffce0, v68
	v_cndmask_b32_e64 v68, v69, v68, s[0:1]
	v_mov_b32_e32 v69, 0
	v_lshl_add_u64 v[100:101], v[68:69], 4, s[8:9]
	global_load_dwordx4 v[68:71], v[100:101], off offset:752
	global_load_dwordx4 v[76:79], v[100:101], off offset:768
	;; [unrolled: 1-line block ×16, first 2 shown]
	s_mov_b32 s2, 0x7faef3
	s_mov_b32 s0, 0x370991
	;; [unrolled: 1-line block ×48, first 2 shown]
	s_waitcnt vmcnt(15) lgkmcnt(8)
	v_mul_f64 v[100:101], v[22:23], v[68:69]
	v_mul_f64 v[22:23], v[22:23], v[70:71]
	s_waitcnt vmcnt(14) lgkmcnt(7)
	v_mul_f64 v[102:103], v[34:35], v[76:77]
	v_mul_f64 v[34:35], v[34:35], v[78:79]
	s_waitcnt vmcnt(13)
	v_mul_f64 v[106:107], v[38:39], v[72:73]
	s_waitcnt vmcnt(11)
	v_mul_f64 v[110:111], v[26:27], v[84:85]
	v_mul_f64 v[26:27], v[26:27], v[86:87]
	s_waitcnt vmcnt(10) lgkmcnt(5)
	v_mul_f64 v[108:109], v[46:47], v[92:93]
	v_mul_f64 v[46:47], v[46:47], v[94:95]
	;; [unrolled: 1-line block ×3, first 2 shown]
	s_waitcnt vmcnt(9)
	v_mul_f64 v[114:115], v[30:31], v[88:89]
	s_waitcnt vmcnt(4) lgkmcnt(2)
	v_mul_f64 v[120:121], v[58:59], v[146:147]
	v_mul_f64 v[58:59], v[58:59], v[148:149]
	s_waitcnt vmcnt(2) lgkmcnt(1)
	v_mul_f64 v[122:123], v[62:63], v[154:155]
	v_mul_f64 v[166:167], v[62:63], v[156:157]
	s_waitcnt vmcnt(1)
	v_mul_f64 v[128:129], v[10:11], v[158:159]
	s_waitcnt vmcnt(0) lgkmcnt(0)
	v_mul_f64 v[62:63], v[66:67], v[162:163]
	v_mul_f64 v[126:127], v[14:15], v[150:151]
	;; [unrolled: 1-line block ×4, first 2 shown]
	v_fmac_f64_e32 v[128:129], v[8:9], v[160:161]
	v_fmac_f64_e32 v[62:63], v[64:65], v[164:165]
	v_mul_f64 v[124:125], v[6:7], v[142:143]
	v_mul_f64 v[14:15], v[14:15], v[152:153]
	v_fma_f64 v[66:67], v[20:21], v[68:69], -v[22:23]
	v_fma_f64 v[68:69], v[32:33], v[76:77], -v[34:35]
	v_fmac_f64_e32 v[106:107], v[36:37], v[74:75]
	v_fma_f64 v[76:77], v[24:25], v[84:85], -v[26:27]
	v_fma_f64 v[74:75], v[44:45], v[92:93], -v[46:47]
	v_fmac_f64_e32 v[120:121], v[56:57], v[148:149]
	v_fma_f64 v[84:85], v[56:57], v[146:147], -v[58:59]
	v_fmac_f64_e32 v[126:127], v[12:13], v[152:153]
	v_fmac_f64_e32 v[122:123], v[60:61], v[156:157]
	v_fma_f64 v[92:93], v[8:9], v[158:159], -v[10:11]
	v_fma_f64 v[64:65], v[64:65], v[162:163], -v[168:169]
	v_add_f64 v[56:57], v[128:129], v[62:63]
	v_mul_f64 v[104:105], v[42:43], v[80:81]
	v_mul_f64 v[30:31], v[30:31], v[90:91]
	;; [unrolled: 1-line block ×7, first 2 shown]
	v_fmac_f64_e32 v[108:109], v[44:45], v[94:95]
	v_fmac_f64_e32 v[114:115], v[28:29], v[90:91]
	;; [unrolled: 1-line block ×3, first 2 shown]
	v_fma_f64 v[90:91], v[12:13], v[150:151], -v[14:15]
	v_fma_f64 v[60:61], v[60:61], v[154:155], -v[166:167]
	v_mul_f64 v[8:9], v[56:57], s[2:3]
	v_add_f64 v[94:95], v[92:93], -v[64:65]
	v_add_f64 v[144:145], v[126:127], v[122:123]
	v_mul_f64 v[42:43], v[42:43], v[82:83]
	v_mul_f64 v[18:19], v[18:19], v[136:137]
	v_mul_f64 v[54:55], v[54:55], v[140:141]
	v_fmac_f64_e32 v[102:103], v[32:33], v[78:79]
	v_fmac_f64_e32 v[104:105], v[40:41], v[82:83]
	v_fma_f64 v[82:83], v[28:29], v[88:89], -v[30:31]
	v_fma_f64 v[78:79], v[48:49], v[130:131], -v[50:51]
	v_fmac_f64_e32 v[118:119], v[16:17], v[136:137]
	v_fmac_f64_e32 v[116:117], v[52:53], v[140:141]
	v_fma_f64 v[88:89], v[4:5], v[142:143], -v[6:7]
	v_fma_f64 v[4:5], s[20:21], v[94:95], v[8:9]
	v_mul_f64 v[10:11], v[144:145], s[0:1]
	v_add_f64 v[130:131], v[90:91], -v[60:61]
	v_add_f64 v[58:59], v[124:125], v[120:121]
	v_fmac_f64_e32 v[100:101], v[20:21], v[70:71]
	v_fma_f64 v[70:71], v[40:41], v[80:81], -v[42:43]
	v_fmac_f64_e32 v[110:111], v[24:25], v[86:87]
	v_fmac_f64_e32 v[112:113], v[48:49], v[132:133]
	v_fma_f64 v[86:87], v[16:17], v[134:135], -v[18:19]
	v_fma_f64 v[80:81], v[52:53], v[138:139], -v[54:55]
	v_add_f64 v[4:5], v[2:3], v[4:5]
	v_fma_f64 v[6:7], s[8:9], v[130:131], v[10:11]
	v_mul_f64 v[12:13], v[58:59], s[10:11]
	v_add_f64 v[132:133], v[88:89], -v[84:85]
	v_add_f64 v[148:149], v[118:119], v[116:117]
	v_add_f64 v[4:5], v[6:7], v[4:5]
	v_fma_f64 v[6:7], s[28:29], v[132:133], v[12:13]
	v_mul_f64 v[14:15], v[148:149], s[12:13]
	v_add_f64 v[134:135], v[86:87], -v[80:81]
	v_add_f64 v[150:151], v[114:115], v[112:113]
	;; [unrolled: 5-line block ×3, first 2 shown]
	v_fma_f64 v[72:73], v[36:37], v[72:73], -v[38:39]
	v_add_f64 v[4:5], v[6:7], v[4:5]
	v_fma_f64 v[6:7], s[30:31], v[136:137], v[16:17]
	v_mul_f64 v[18:19], v[154:155], s[18:19]
	v_add_f64 v[138:139], v[76:77], -v[74:75]
	v_add_f64 v[156:157], v[106:107], v[104:105]
	v_add_f64 v[4:5], v[6:7], v[4:5]
	v_fma_f64 v[6:7], s[26:27], v[138:139], v[18:19]
	v_mul_f64 v[20:21], v[156:157], s[24:25]
	v_add_f64 v[140:141], v[72:73], -v[70:71]
	v_add_f64 v[168:169], v[128:129], -v[62:63]
	v_add_f64 v[4:5], v[6:7], v[4:5]
	v_fma_f64 v[6:7], s[34:35], v[140:141], v[20:21]
	v_add_f64 v[142:143], v[92:93], v[64:65]
	v_mul_f64 v[22:23], v[168:169], s[36:37]
	v_add_f64 v[172:173], v[126:127], -v[122:123]
	v_add_f64 v[4:5], v[6:7], v[4:5]
	v_fma_f64 v[6:7], s[2:3], v[142:143], v[22:23]
	v_add_f64 v[146:147], v[90:91], v[60:61]
	v_mul_f64 v[24:25], v[172:173], s[48:49]
	v_add_f64 v[6:7], v[0:1], v[6:7]
	v_fma_f64 v[26:27], s[0:1], v[146:147], v[24:25]
	v_add_f64 v[170:171], v[124:125], -v[120:121]
	v_add_f64 v[6:7], v[26:27], v[6:7]
	v_add_f64 v[152:153], v[88:89], v[84:85]
	v_mul_f64 v[26:27], v[170:171], s[38:39]
	v_fma_f64 v[28:29], s[10:11], v[152:153], v[26:27]
	v_add_f64 v[174:175], v[118:119], -v[116:117]
	v_fmac_f64_e32 v[8:9], s[36:37], v[94:95]
	v_add_f64 v[6:7], v[28:29], v[6:7]
	v_add_f64 v[158:159], v[86:87], v[80:81]
	v_mul_f64 v[28:29], v[174:175], s[50:51]
	v_fmac_f64_e32 v[10:11], s[48:49], v[130:131]
	v_add_f64 v[8:9], v[2:3], v[8:9]
	v_fma_f64 v[30:31], s[12:13], v[158:159], v[28:29]
	v_add_f64 v[176:177], v[114:115], -v[112:113]
	v_add_f64 v[8:9], v[10:11], v[8:9]
	v_fmac_f64_e32 v[12:13], s[38:39], v[132:133]
	v_add_f64 v[6:7], v[30:31], v[6:7]
	v_add_f64 v[160:161], v[82:83], v[78:79]
	v_mul_f64 v[30:31], v[176:177], s[42:43]
	v_add_f64 v[8:9], v[12:13], v[8:9]
	v_fma_f64 v[12:13], v[142:143], s[2:3], -v[22:23]
	v_fma_f64 v[32:33], s[14:15], v[160:161], v[30:31]
	v_add_f64 v[180:181], v[110:111], -v[108:109]
	v_fma_f64 v[10:11], v[146:147], s[0:1], -v[24:25]
	v_add_f64 v[12:13], v[0:1], v[12:13]
	v_add_f64 v[6:7], v[32:33], v[6:7]
	;; [unrolled: 1-line block ×3, first 2 shown]
	v_mul_f64 v[32:33], v[180:181], s[52:53]
	v_fmac_f64_e32 v[14:15], s[50:51], v[134:135]
	v_add_f64 v[10:11], v[10:11], v[12:13]
	v_fma_f64 v[12:13], v[152:153], s[10:11], -v[26:27]
	v_fma_f64 v[34:35], s[18:19], v[162:163], v[32:33]
	v_add_f64 v[182:183], v[106:107], -v[104:105]
	v_add_f64 v[8:9], v[14:15], v[8:9]
	v_fmac_f64_e32 v[16:17], s[42:43], v[136:137]
	v_add_f64 v[10:11], v[12:13], v[10:11]
	v_fma_f64 v[12:13], v[158:159], s[12:13], -v[28:29]
	v_add_f64 v[6:7], v[34:35], v[6:7]
	v_add_f64 v[164:165], v[72:73], v[70:71]
	v_mul_f64 v[34:35], v[182:183], s[44:45]
	v_add_f64 v[184:185], v[100:101], v[102:103]
	v_add_f64 v[8:9], v[16:17], v[8:9]
	v_fmac_f64_e32 v[18:19], s[52:53], v[138:139]
	v_add_f64 v[10:11], v[12:13], v[10:11]
	v_fma_f64 v[12:13], v[160:161], s[14:15], -v[30:31]
	v_fma_f64 v[36:37], s[24:25], v[164:165], v[34:35]
	v_mul_f64 v[38:39], v[184:185], s[40:41]
	v_add_f64 v[178:179], v[66:67], -v[68:69]
	v_add_f64 v[186:187], v[100:101], -v[102:103]
	v_add_f64 v[8:9], v[18:19], v[8:9]
	v_fmac_f64_e32 v[20:21], s[44:45], v[140:141]
	v_add_f64 v[10:11], v[12:13], v[10:11]
	v_fma_f64 v[12:13], v[162:163], s[18:19], -v[32:33]
	v_add_f64 v[36:37], v[36:37], v[6:7]
	v_fma_f64 v[6:7], s[46:47], v[178:179], v[38:39]
	v_add_f64 v[166:167], v[66:67], v[68:69]
	v_mul_f64 v[40:41], v[186:187], s[54:55]
	v_add_f64 v[8:9], v[20:21], v[8:9]
	v_add_f64 v[10:11], v[12:13], v[10:11]
	v_fma_f64 v[12:13], v[164:165], s[24:25], -v[34:35]
	v_fmac_f64_e32 v[38:39], s[54:55], v[178:179]
	v_add_f64 v[12:13], v[12:13], v[10:11]
	v_add_f64 v[10:11], v[38:39], v[8:9]
	v_fma_f64 v[8:9], v[166:167], s[40:41], -v[40:41]
	v_mul_f64 v[16:17], v[56:57], s[10:11]
	v_add_f64 v[8:9], v[8:9], v[12:13]
	v_fma_f64 v[12:13], s[28:29], v[94:95], v[16:17]
	v_mul_f64 v[18:19], v[144:145], s[18:19]
	v_add_f64 v[12:13], v[2:3], v[12:13]
	v_fma_f64 v[14:15], s[26:27], v[130:131], v[18:19]
	;; [unrolled: 3-line block ×9, first 2 shown]
	v_add_f64 v[6:7], v[6:7], v[4:5]
	v_fma_f64 v[4:5], s[40:41], v[166:167], v[40:41]
	v_add_f64 v[14:15], v[34:35], v[14:15]
	v_mul_f64 v[34:35], v[170:171], s[46:47]
	v_add_f64 v[4:5], v[4:5], v[36:37]
	v_fma_f64 v[36:37], s[40:41], v[152:153], v[34:35]
	v_fmac_f64_e32 v[16:17], s[38:39], v[94:95]
	v_add_f64 v[14:15], v[36:37], v[14:15]
	v_mul_f64 v[36:37], v[174:175], s[30:31]
	v_fmac_f64_e32 v[18:19], s[52:53], v[130:131]
	v_add_f64 v[16:17], v[2:3], v[16:17]
	v_fma_f64 v[38:39], s[14:15], v[158:159], v[36:37]
	v_add_f64 v[16:17], v[18:19], v[16:17]
	v_fmac_f64_e32 v[20:21], s[46:47], v[132:133]
	v_add_f64 v[14:15], v[38:39], v[14:15]
	v_mul_f64 v[38:39], v[176:177], s[8:9]
	v_add_f64 v[16:17], v[20:21], v[16:17]
	v_fma_f64 v[20:21], v[142:143], s[10:11], -v[30:31]
	v_fma_f64 v[40:41], s[0:1], v[160:161], v[38:39]
	v_fma_f64 v[18:19], v[146:147], s[18:19], -v[32:33]
	v_add_f64 v[20:21], v[0:1], v[20:21]
	v_add_f64 v[14:15], v[40:41], v[14:15]
	v_mul_f64 v[40:41], v[180:181], s[36:37]
	v_fmac_f64_e32 v[22:23], s[30:31], v[134:135]
	v_add_f64 v[18:19], v[18:19], v[20:21]
	v_fma_f64 v[20:21], v[152:153], s[40:41], -v[34:35]
	v_fma_f64 v[42:43], s[2:3], v[162:163], v[40:41]
	v_add_f64 v[16:17], v[22:23], v[16:17]
	v_fmac_f64_e32 v[24:25], s[8:9], v[136:137]
	v_add_f64 v[18:19], v[20:21], v[18:19]
	v_fma_f64 v[20:21], v[158:159], s[14:15], -v[36:37]
	v_add_f64 v[14:15], v[42:43], v[14:15]
	v_mul_f64 v[42:43], v[182:183], s[50:51]
	v_add_f64 v[16:17], v[24:25], v[16:17]
	v_fmac_f64_e32 v[26:27], s[36:37], v[138:139]
	v_add_f64 v[18:19], v[20:21], v[18:19]
	v_fma_f64 v[20:21], v[160:161], s[0:1], -v[38:39]
	v_fma_f64 v[44:45], s[12:13], v[164:165], v[42:43]
	v_mul_f64 v[46:47], v[184:185], s[24:25]
	v_add_f64 v[16:17], v[26:27], v[16:17]
	v_fmac_f64_e32 v[28:29], s[50:51], v[140:141]
	v_add_f64 v[18:19], v[20:21], v[18:19]
	v_fma_f64 v[20:21], v[162:163], s[2:3], -v[40:41]
	v_add_f64 v[44:45], v[44:45], v[14:15]
	v_fma_f64 v[14:15], s[34:35], v[178:179], v[46:47]
	v_mul_f64 v[48:49], v[186:187], s[44:45]
	v_add_f64 v[16:17], v[28:29], v[16:17]
	v_add_f64 v[18:19], v[20:21], v[18:19]
	v_fma_f64 v[20:21], v[164:165], s[12:13], -v[42:43]
	v_fmac_f64_e32 v[46:47], s[44:45], v[178:179]
	v_add_f64 v[20:21], v[20:21], v[18:19]
	v_add_f64 v[18:19], v[46:47], v[16:17]
	v_fma_f64 v[16:17], v[166:167], s[24:25], -v[48:49]
	v_mul_f64 v[24:25], v[56:57], s[14:15]
	v_add_f64 v[16:17], v[16:17], v[20:21]
	v_fma_f64 v[20:21], s[30:31], v[94:95], v[24:25]
	v_mul_f64 v[26:27], v[144:145], s[24:25]
	v_add_f64 v[20:21], v[2:3], v[20:21]
	v_fma_f64 v[22:23], s[44:45], v[130:131], v[26:27]
	;; [unrolled: 3-line block ×9, first 2 shown]
	v_add_f64 v[14:15], v[14:15], v[12:13]
	v_fma_f64 v[12:13], s[24:25], v[166:167], v[48:49]
	v_add_f64 v[22:23], v[42:43], v[22:23]
	v_mul_f64 v[42:43], v[170:171], s[8:9]
	v_add_f64 v[12:13], v[12:13], v[44:45]
	v_fma_f64 v[44:45], s[0:1], v[152:153], v[42:43]
	v_fmac_f64_e32 v[24:25], s[42:43], v[94:95]
	v_add_f64 v[22:23], v[44:45], v[22:23]
	v_mul_f64 v[44:45], v[174:175], s[38:39]
	v_fmac_f64_e32 v[26:27], s[34:35], v[130:131]
	v_add_f64 v[24:25], v[2:3], v[24:25]
	v_fma_f64 v[46:47], s[10:11], v[158:159], v[44:45]
	v_add_f64 v[24:25], v[26:27], v[24:25]
	v_fmac_f64_e32 v[28:29], s[8:9], v[132:133]
	v_add_f64 v[22:23], v[46:47], v[22:23]
	v_mul_f64 v[46:47], v[176:177], s[54:55]
	v_add_f64 v[24:25], v[28:29], v[24:25]
	v_fma_f64 v[28:29], v[142:143], s[14:15], -v[38:39]
	v_fma_f64 v[48:49], s[40:41], v[160:161], v[46:47]
	v_fma_f64 v[26:27], v[146:147], s[24:25], -v[40:41]
	v_add_f64 v[28:29], v[0:1], v[28:29]
	v_add_f64 v[22:23], v[48:49], v[22:23]
	v_mul_f64 v[48:49], v[180:181], s[22:23]
	v_fmac_f64_e32 v[30:31], s[38:39], v[134:135]
	v_add_f64 v[26:27], v[26:27], v[28:29]
	v_fma_f64 v[28:29], v[152:153], s[0:1], -v[42:43]
	v_fma_f64 v[50:51], s[12:13], v[162:163], v[48:49]
	v_add_f64 v[24:25], v[30:31], v[24:25]
	v_fmac_f64_e32 v[32:33], s[54:55], v[136:137]
	v_add_f64 v[26:27], v[28:29], v[26:27]
	v_fma_f64 v[28:29], v[158:159], s[10:11], -v[44:45]
	v_add_f64 v[22:23], v[50:51], v[22:23]
	v_mul_f64 v[50:51], v[182:183], s[36:37]
	v_add_f64 v[24:25], v[32:33], v[24:25]
	v_fmac_f64_e32 v[34:35], s[22:23], v[138:139]
	v_add_f64 v[26:27], v[28:29], v[26:27]
	v_fma_f64 v[28:29], v[160:161], s[40:41], -v[46:47]
	v_fma_f64 v[52:53], s[2:3], v[164:165], v[50:51]
	v_mul_f64 v[54:55], v[184:185], s[18:19]
	v_add_f64 v[24:25], v[34:35], v[24:25]
	v_fmac_f64_e32 v[36:37], s[36:37], v[140:141]
	v_add_f64 v[26:27], v[28:29], v[26:27]
	v_fma_f64 v[28:29], v[162:163], s[12:13], -v[48:49]
	v_add_f64 v[52:53], v[52:53], v[22:23]
	v_fma_f64 v[22:23], s[26:27], v[178:179], v[54:55]
	v_mul_f64 v[190:191], v[186:187], s[52:53]
	v_add_f64 v[24:25], v[36:37], v[24:25]
	v_add_f64 v[26:27], v[28:29], v[26:27]
	v_fma_f64 v[28:29], v[164:165], s[2:3], -v[50:51]
	v_fmac_f64_e32 v[54:55], s[52:53], v[178:179]
	v_add_f64 v[28:29], v[28:29], v[26:27]
	v_add_f64 v[26:27], v[54:55], v[24:25]
	v_fma_f64 v[24:25], v[166:167], s[18:19], -v[190:191]
	v_mul_f64 v[32:33], v[56:57], s[24:25]
	v_add_f64 v[24:25], v[24:25], v[28:29]
	v_fma_f64 v[28:29], s[34:35], v[94:95], v[32:33]
	v_mul_f64 v[34:35], v[144:145], s[10:11]
	v_add_f64 v[28:29], v[2:3], v[28:29]
	v_fma_f64 v[30:31], s[38:39], v[130:131], v[34:35]
	;; [unrolled: 3-line block ×9, first 2 shown]
	v_add_f64 v[22:23], v[22:23], v[20:21]
	v_fma_f64 v[20:21], s[18:19], v[166:167], v[190:191]
	v_add_f64 v[30:31], v[50:51], v[30:31]
	v_mul_f64 v[50:51], v[170:171], s[50:51]
	v_add_f64 v[20:21], v[20:21], v[52:53]
	v_fma_f64 v[52:53], s[12:13], v[152:153], v[50:51]
	v_fmac_f64_e32 v[32:33], s[44:45], v[94:95]
	v_add_f64 v[30:31], v[52:53], v[30:31]
	v_mul_f64 v[52:53], v[174:175], s[26:27]
	v_fmac_f64_e32 v[34:35], s[28:29], v[130:131]
	v_add_f64 v[32:33], v[2:3], v[32:33]
	v_fma_f64 v[54:55], s[18:19], v[158:159], v[52:53]
	v_add_f64 v[32:33], v[34:35], v[32:33]
	v_fmac_f64_e32 v[36:37], s[50:51], v[132:133]
	v_add_f64 v[30:31], v[54:55], v[30:31]
	v_mul_f64 v[54:55], v[176:177], s[36:37]
	v_add_f64 v[32:33], v[36:37], v[32:33]
	v_fma_f64 v[36:37], v[142:143], s[24:25], -v[46:47]
	v_fma_f64 v[190:191], s[2:3], v[160:161], v[54:55]
	v_fma_f64 v[34:35], v[146:147], s[10:11], -v[48:49]
	v_add_f64 v[36:37], v[0:1], v[36:37]
	v_add_f64 v[30:31], v[190:191], v[30:31]
	v_mul_f64 v[190:191], v[180:181], s[54:55]
	v_fmac_f64_e32 v[38:39], s[26:27], v[134:135]
	v_add_f64 v[34:35], v[34:35], v[36:37]
	v_fma_f64 v[36:37], v[152:153], s[12:13], -v[50:51]
	v_fma_f64 v[192:193], s[40:41], v[162:163], v[190:191]
	v_add_f64 v[32:33], v[38:39], v[32:33]
	v_fmac_f64_e32 v[40:41], s[36:37], v[136:137]
	v_add_f64 v[34:35], v[36:37], v[34:35]
	v_fma_f64 v[36:37], v[158:159], s[18:19], -v[52:53]
	v_add_f64 v[30:31], v[192:193], v[30:31]
	v_mul_f64 v[192:193], v[182:183], s[8:9]
	v_add_f64 v[32:33], v[40:41], v[32:33]
	v_fmac_f64_e32 v[42:43], s[54:55], v[138:139]
	v_add_f64 v[34:35], v[36:37], v[34:35]
	v_fma_f64 v[36:37], v[160:161], s[2:3], -v[54:55]
	v_fma_f64 v[194:195], s[0:1], v[164:165], v[192:193]
	v_mul_f64 v[196:197], v[184:185], s[14:15]
	v_add_f64 v[32:33], v[42:43], v[32:33]
	v_fmac_f64_e32 v[44:45], s[8:9], v[140:141]
	v_add_f64 v[34:35], v[36:37], v[34:35]
	v_fma_f64 v[36:37], v[162:163], s[40:41], -v[190:191]
	v_add_f64 v[194:195], v[194:195], v[30:31]
	v_fma_f64 v[30:31], s[30:31], v[178:179], v[196:197]
	v_mul_f64 v[198:199], v[186:187], s[42:43]
	v_add_f64 v[32:33], v[44:45], v[32:33]
	v_add_f64 v[34:35], v[36:37], v[34:35]
	v_fma_f64 v[36:37], v[164:165], s[0:1], -v[192:193]
	v_fmac_f64_e32 v[196:197], s[42:43], v[178:179]
	v_add_f64 v[34:35], v[36:37], v[34:35]
	v_add_f64 v[38:39], v[196:197], v[32:33]
	v_fma_f64 v[32:33], v[166:167], s[14:15], -v[198:199]
	v_mul_f64 v[40:41], v[56:57], s[40:41]
	v_add_f64 v[36:37], v[32:33], v[34:35]
	v_fma_f64 v[32:33], s[54:55], v[94:95], v[40:41]
	v_mul_f64 v[42:43], v[144:145], s[2:3]
	v_add_f64 v[32:33], v[2:3], v[32:33]
	v_fma_f64 v[34:35], s[20:21], v[130:131], v[42:43]
	;; [unrolled: 3-line block ×9, first 2 shown]
	v_add_f64 v[30:31], v[30:31], v[28:29]
	v_fma_f64 v[28:29], s[14:15], v[166:167], v[198:199]
	v_add_f64 v[34:35], v[192:193], v[34:35]
	v_mul_f64 v[192:193], v[170:171], s[34:35]
	v_add_f64 v[28:29], v[28:29], v[194:195]
	v_fma_f64 v[194:195], s[24:25], v[152:153], v[192:193]
	v_fmac_f64_e32 v[40:41], s[46:47], v[94:95]
	v_add_f64 v[34:35], v[194:195], v[34:35]
	v_mul_f64 v[194:195], v[174:175], s[48:49]
	v_fmac_f64_e32 v[42:43], s[36:37], v[130:131]
	v_add_f64 v[40:41], v[2:3], v[40:41]
	v_fma_f64 v[196:197], s[0:1], v[158:159], v[194:195]
	v_add_f64 v[40:41], v[42:43], v[40:41]
	v_fmac_f64_e32 v[44:45], s[34:35], v[132:133]
	v_add_f64 v[34:35], v[196:197], v[34:35]
	v_mul_f64 v[196:197], v[176:177], s[26:27]
	v_add_f64 v[40:41], v[44:45], v[40:41]
	v_fma_f64 v[44:45], v[142:143], s[40:41], -v[54:55]
	v_fma_f64 v[198:199], s[18:19], v[160:161], v[196:197]
	v_fma_f64 v[42:43], v[146:147], s[2:3], -v[190:191]
	v_add_f64 v[44:45], v[0:1], v[44:45]
	v_add_f64 v[34:35], v[198:199], v[34:35]
	v_mul_f64 v[198:199], v[180:181], s[38:39]
	v_fmac_f64_e32 v[46:47], s[48:49], v[134:135]
	v_add_f64 v[42:43], v[42:43], v[44:45]
	v_fma_f64 v[44:45], v[152:153], s[24:25], -v[192:193]
	v_fma_f64 v[200:201], s[10:11], v[162:163], v[198:199]
	v_add_f64 v[40:41], v[46:47], v[40:41]
	v_fmac_f64_e32 v[48:49], s[26:27], v[136:137]
	v_add_f64 v[42:43], v[44:45], v[42:43]
	v_fma_f64 v[44:45], v[158:159], s[0:1], -v[194:195]
	v_add_f64 v[34:35], v[200:201], v[34:35]
	v_mul_f64 v[200:201], v[182:183], s[30:31]
	v_add_f64 v[40:41], v[48:49], v[40:41]
	v_fmac_f64_e32 v[50:51], s[38:39], v[138:139]
	v_add_f64 v[42:43], v[44:45], v[42:43]
	v_fma_f64 v[44:45], v[160:161], s[18:19], -v[196:197]
	v_fma_f64 v[202:203], s[14:15], v[164:165], v[200:201]
	v_mul_f64 v[204:205], v[184:185], s[12:13]
	v_add_f64 v[40:41], v[50:51], v[40:41]
	v_fmac_f64_e32 v[52:53], s[30:31], v[140:141]
	v_add_f64 v[42:43], v[44:45], v[42:43]
	v_fma_f64 v[44:45], v[162:163], s[10:11], -v[198:199]
	v_add_f64 v[202:203], v[202:203], v[34:35]
	v_fma_f64 v[34:35], s[22:23], v[178:179], v[204:205]
	v_mul_f64 v[206:207], v[186:187], s[50:51]
	v_add_f64 v[40:41], v[52:53], v[40:41]
	v_add_f64 v[42:43], v[44:45], v[42:43]
	v_fma_f64 v[44:45], v[164:165], s[14:15], -v[200:201]
	v_fmac_f64_e32 v[204:205], s[50:51], v[178:179]
	v_add_f64 v[42:43], v[44:45], v[42:43]
	v_add_f64 v[46:47], v[204:205], v[40:41]
	v_fma_f64 v[40:41], v[166:167], s[12:13], -v[206:207]
	v_mul_f64 v[48:49], v[56:57], s[18:19]
	v_add_f64 v[44:45], v[40:41], v[42:43]
	v_fma_f64 v[40:41], s[52:53], v[94:95], v[48:49]
	v_mul_f64 v[50:51], v[144:145], s[14:15]
	v_add_f64 v[40:41], v[2:3], v[40:41]
	v_fma_f64 v[42:43], s[30:31], v[130:131], v[50:51]
	;; [unrolled: 3-line block ×9, first 2 shown]
	v_add_f64 v[34:35], v[34:35], v[32:33]
	v_fma_f64 v[32:33], s[12:13], v[166:167], v[206:207]
	v_add_f64 v[42:43], v[200:201], v[42:43]
	v_mul_f64 v[200:201], v[170:171], s[20:21]
	v_add_f64 v[32:33], v[32:33], v[202:203]
	v_fma_f64 v[202:203], s[2:3], v[152:153], v[200:201]
	v_fmac_f64_e32 v[48:49], s[26:27], v[94:95]
	v_add_f64 v[42:43], v[202:203], v[42:43]
	v_mul_f64 v[202:203], v[174:175], s[34:35]
	v_fmac_f64_e32 v[50:51], s[42:43], v[130:131]
	v_add_f64 v[48:49], v[2:3], v[48:49]
	v_fma_f64 v[204:205], s[24:25], v[158:159], v[202:203]
	v_add_f64 v[48:49], v[50:51], v[48:49]
	v_fmac_f64_e32 v[52:53], s[20:21], v[132:133]
	v_add_f64 v[42:43], v[204:205], v[42:43]
	v_mul_f64 v[204:205], v[176:177], s[50:51]
	v_add_f64 v[48:49], v[52:53], v[48:49]
	v_fma_f64 v[52:53], v[142:143], s[18:19], -v[196:197]
	v_fma_f64 v[206:207], s[12:13], v[160:161], v[204:205]
	v_fma_f64 v[50:51], v[146:147], s[14:15], -v[198:199]
	v_add_f64 v[52:53], v[0:1], v[52:53]
	v_add_f64 v[42:43], v[206:207], v[42:43]
	v_mul_f64 v[206:207], v[180:181], s[8:9]
	v_fmac_f64_e32 v[54:55], s[34:35], v[134:135]
	v_add_f64 v[50:51], v[50:51], v[52:53]
	v_fma_f64 v[52:53], v[152:153], s[2:3], -v[200:201]
	v_fma_f64 v[208:209], s[0:1], v[162:163], v[206:207]
	v_add_f64 v[48:49], v[54:55], v[48:49]
	v_fmac_f64_e32 v[190:191], s[50:51], v[136:137]
	v_add_f64 v[50:51], v[52:53], v[50:51]
	v_fma_f64 v[52:53], v[158:159], s[24:25], -v[202:203]
	v_add_f64 v[42:43], v[208:209], v[42:43]
	v_mul_f64 v[208:209], v[182:183], s[46:47]
	v_add_f64 v[48:49], v[190:191], v[48:49]
	v_fmac_f64_e32 v[192:193], s[8:9], v[138:139]
	v_add_f64 v[50:51], v[52:53], v[50:51]
	v_fma_f64 v[52:53], v[160:161], s[12:13], -v[204:205]
	v_fma_f64 v[210:211], s[40:41], v[164:165], v[208:209]
	v_mul_f64 v[212:213], v[184:185], s[10:11]
	v_add_f64 v[48:49], v[192:193], v[48:49]
	v_fmac_f64_e32 v[194:195], s[46:47], v[140:141]
	v_add_f64 v[50:51], v[52:53], v[50:51]
	v_fma_f64 v[52:53], v[162:163], s[0:1], -v[206:207]
	v_add_f64 v[210:211], v[210:211], v[42:43]
	v_fma_f64 v[42:43], s[28:29], v[178:179], v[212:213]
	v_mul_f64 v[214:215], v[186:187], s[38:39]
	v_add_f64 v[48:49], v[194:195], v[48:49]
	v_add_f64 v[50:51], v[52:53], v[50:51]
	v_fma_f64 v[52:53], v[164:165], s[40:41], -v[208:209]
	v_fmac_f64_e32 v[212:213], s[38:39], v[178:179]
	v_add_f64 v[50:51], v[52:53], v[50:51]
	v_add_f64 v[54:55], v[212:213], v[48:49]
	v_fma_f64 v[48:49], v[166:167], s[10:11], -v[214:215]
	v_mul_f64 v[190:191], v[56:57], s[12:13]
	v_add_f64 v[52:53], v[48:49], v[50:51]
	v_fma_f64 v[48:49], s[50:51], v[94:95], v[190:191]
	v_mul_f64 v[192:193], v[144:145], s[40:41]
	v_add_f64 v[48:49], v[2:3], v[48:49]
	v_fma_f64 v[50:51], s[54:55], v[130:131], v[192:193]
	v_mul_f64 v[194:195], v[58:59], s[14:15]
	v_add_f64 v[48:49], v[50:51], v[48:49]
	v_fma_f64 v[50:51], s[30:31], v[132:133], v[194:195]
	v_mul_f64 v[196:197], v[148:149], s[2:3]
	v_add_f64 v[48:49], v[50:51], v[48:49]
	v_fma_f64 v[50:51], s[20:21], v[134:135], v[196:197]
	v_mul_f64 v[198:199], v[150:151], s[10:11]
	v_add_f64 v[48:49], v[50:51], v[48:49]
	v_fma_f64 v[50:51], s[38:39], v[136:137], v[198:199]
	v_mul_f64 v[200:201], v[154:155], s[24:25]
	v_add_f64 v[48:49], v[50:51], v[48:49]
	v_fma_f64 v[50:51], s[44:45], v[138:139], v[200:201]
	v_mul_f64 v[202:203], v[156:157], s[18:19]
	v_add_f64 v[48:49], v[50:51], v[48:49]
	v_fma_f64 v[50:51], s[26:27], v[140:141], v[202:203]
	v_mul_f64 v[204:205], v[168:169], s[22:23]
	v_add_f64 v[48:49], v[50:51], v[48:49]
	v_fma_f64 v[50:51], s[12:13], v[142:143], v[204:205]
	v_mul_f64 v[206:207], v[172:173], s[46:47]
	v_add_f64 v[50:51], v[0:1], v[50:51]
	v_fma_f64 v[208:209], s[40:41], v[146:147], v[206:207]
	v_add_f64 v[42:43], v[42:43], v[40:41]
	v_fma_f64 v[40:41], s[10:11], v[166:167], v[214:215]
	v_add_f64 v[50:51], v[208:209], v[50:51]
	v_mul_f64 v[208:209], v[170:171], s[42:43]
	v_add_f64 v[40:41], v[40:41], v[210:211]
	v_fma_f64 v[210:211], s[14:15], v[152:153], v[208:209]
	v_fmac_f64_e32 v[190:191], s[22:23], v[94:95]
	v_add_f64 v[50:51], v[210:211], v[50:51]
	v_mul_f64 v[210:211], v[174:175], s[36:37]
	v_fmac_f64_e32 v[192:193], s[46:47], v[130:131]
	v_add_f64 v[190:191], v[2:3], v[190:191]
	v_fma_f64 v[212:213], s[2:3], v[158:159], v[210:211]
	v_add_f64 v[190:191], v[192:193], v[190:191]
	v_fmac_f64_e32 v[194:195], s[42:43], v[132:133]
	v_add_f64 v[50:51], v[212:213], v[50:51]
	v_mul_f64 v[212:213], v[176:177], s[28:29]
	v_add_f64 v[190:191], v[194:195], v[190:191]
	v_fma_f64 v[194:195], v[142:143], s[12:13], -v[204:205]
	v_fma_f64 v[214:215], s[10:11], v[160:161], v[212:213]
	v_fma_f64 v[192:193], v[146:147], s[40:41], -v[206:207]
	v_add_f64 v[194:195], v[0:1], v[194:195]
	v_add_f64 v[50:51], v[214:215], v[50:51]
	v_mul_f64 v[214:215], v[180:181], s[34:35]
	v_fmac_f64_e32 v[196:197], s[36:37], v[134:135]
	v_add_f64 v[192:193], v[192:193], v[194:195]
	v_fma_f64 v[194:195], v[152:153], s[14:15], -v[208:209]
	v_fma_f64 v[216:217], s[24:25], v[162:163], v[214:215]
	v_add_f64 v[190:191], v[196:197], v[190:191]
	v_fmac_f64_e32 v[198:199], s[28:29], v[136:137]
	v_add_f64 v[192:193], v[194:195], v[192:193]
	v_fma_f64 v[194:195], v[158:159], s[2:3], -v[210:211]
	v_add_f64 v[50:51], v[216:217], v[50:51]
	v_mul_f64 v[216:217], v[182:183], s[52:53]
	v_add_f64 v[190:191], v[198:199], v[190:191]
	v_fmac_f64_e32 v[200:201], s[34:35], v[138:139]
	v_add_f64 v[192:193], v[194:195], v[192:193]
	v_fma_f64 v[194:195], v[160:161], s[10:11], -v[212:213]
	v_fma_f64 v[218:219], s[18:19], v[164:165], v[216:217]
	v_mul_f64 v[220:221], v[184:185], s[0:1]
	v_add_f64 v[190:191], v[200:201], v[190:191]
	v_fmac_f64_e32 v[202:203], s[52:53], v[140:141]
	v_add_f64 v[192:193], v[194:195], v[192:193]
	v_fma_f64 v[194:195], v[162:163], s[24:25], -v[214:215]
	v_add_f64 v[218:219], v[218:219], v[50:51]
	v_fma_f64 v[50:51], s[8:9], v[178:179], v[220:221]
	v_mul_f64 v[222:223], v[186:187], s[48:49]
	v_add_f64 v[190:191], v[202:203], v[190:191]
	v_add_f64 v[192:193], v[194:195], v[192:193]
	v_fma_f64 v[194:195], v[164:165], s[18:19], -v[216:217]
	v_fmac_f64_e32 v[220:221], s[48:49], v[178:179]
	v_add_f64 v[194:195], v[194:195], v[192:193]
	v_add_f64 v[192:193], v[220:221], v[190:191]
	v_fma_f64 v[190:191], v[166:167], s[0:1], -v[222:223]
	v_add_f64 v[190:191], v[190:191], v[194:195]
	v_mul_f64 v[194:195], v[56:57], s[0:1]
	v_mul_f64 v[144:145], v[144:145], s[12:13]
	v_fma_f64 v[56:57], s[48:49], v[94:95], v[194:195]
	v_add_f64 v[56:57], v[2:3], v[56:57]
	v_fma_f64 v[196:197], s[50:51], v[130:131], v[144:145]
	v_add_f64 v[56:57], v[196:197], v[56:57]
	v_mul_f64 v[196:197], v[58:59], s[18:19]
	v_fma_f64 v[58:59], s[52:53], v[132:133], v[196:197]
	v_mul_f64 v[148:149], v[148:149], s[40:41]
	v_add_f64 v[56:57], v[58:59], v[56:57]
	v_fma_f64 v[58:59], s[54:55], v[134:135], v[148:149]
	v_mul_f64 v[150:151], v[150:151], s[24:25]
	v_add_f64 v[56:57], v[58:59], v[56:57]
	;; [unrolled: 3-line block ×4, first 2 shown]
	v_fma_f64 v[58:59], s[28:29], v[140:141], v[156:157]
	v_mul_f64 v[168:169], v[168:169], s[8:9]
	v_fmac_f64_e32 v[194:195], s[8:9], v[94:95]
	v_add_f64 v[56:57], v[58:59], v[56:57]
	v_fma_f64 v[58:59], s[0:1], v[142:143], v[168:169]
	v_add_f64 v[94:95], v[2:3], v[194:195]
	v_fma_f64 v[142:143], v[142:143], s[0:1], -v[168:169]
	v_add_f64 v[2:3], v[2:3], v[128:129]
	v_add_f64 v[58:59], v[0:1], v[58:59]
	;; [unrolled: 1-line block ×32, first 2 shown]
	v_fma_f64 v[48:49], s[0:1], v[166:167], v[222:223]
	v_add_f64 v[0:1], v[60:61], v[0:1]
	v_add_f64 v[2:3], v[62:63], v[2:3]
	v_mul_lo_u32 v62, s5, v98
	v_mul_lo_u32 v63, s4, v99
	v_mad_u64_u32 v[60:61], s[0:1], s4, v98, 0
	v_add3_u32 v61, v61, v63, v62
	v_mad_u64_u32 v[62:63], s[0:1], s16, v188, 0
	v_add_f64 v[0:1], v[64:65], v[0:1]
	v_mov_b32_e32 v64, v63
	v_mul_f64 v[172:173], v[172:173], s[22:23]
	v_fmac_f64_e32 v[144:145], s[22:23], v[130:131]
	v_mad_u64_u32 v[64:65], s[0:1], s17, v188, v[64:65]
	v_lshl_add_u64 v[60:61], v[60:61], 4, s[6:7]
	v_fma_f64 v[198:199], s[12:13], v[146:147], v[172:173]
	v_mul_f64 v[170:171], v[170:171], s[26:27]
	v_add_f64 v[94:95], v[144:145], v[94:95]
	v_fma_f64 v[144:145], v[146:147], s[12:13], -v[172:173]
	v_mov_b32_e32 v63, v64
	v_lshl_add_u64 v[60:61], v[96:97], 4, v[60:61]
	v_add_f64 v[58:59], v[198:199], v[58:59]
	v_fma_f64 v[198:199], s[18:19], v[152:153], v[170:171]
	v_mul_f64 v[174:175], v[174:175], s[46:47]
	v_fmac_f64_e32 v[156:157], s[38:39], v[140:141]
	v_fmac_f64_e32 v[196:197], s[26:27], v[132:133]
	v_fma_f64 v[140:141], v[152:153], s[18:19], -v[170:171]
	v_add_f64 v[142:143], v[144:145], v[142:143]
	v_lshl_add_u64 v[62:63], v[62:63], 4, v[60:61]
	v_add_f64 v[58:59], v[198:199], v[58:59]
	v_fma_f64 v[198:199], s[40:41], v[158:159], v[174:175]
	v_mul_f64 v[176:177], v[176:177], s[44:45]
	v_fmac_f64_e32 v[154:155], s[42:43], v[138:139]
	v_fmac_f64_e32 v[148:149], s[46:47], v[134:135]
	v_add_f64 v[94:95], v[196:197], v[94:95]
	v_fma_f64 v[138:139], v[158:159], s[40:41], -v[174:175]
	v_add_f64 v[140:141], v[140:141], v[142:143]
	global_store_dwordx4 v[62:63], v[0:3], off
	v_add_f64 v[58:59], v[198:199], v[58:59]
	v_fma_f64 v[198:199], s[24:25], v[160:161], v[176:177]
	v_add_u32_e32 v3, 50, v188
	v_mul_f64 v[180:181], v[180:181], s[42:43]
	v_fmac_f64_e32 v[150:151], s[44:45], v[136:137]
	v_add_f64 v[94:95], v[148:149], v[94:95]
	v_fma_f64 v[136:137], v[160:161], s[24:25], -v[176:177]
	v_add_f64 v[138:139], v[138:139], v[140:141]
	v_mad_u64_u32 v[0:1], s[0:1], s16, v3, 0
	v_add_f64 v[58:59], v[198:199], v[58:59]
	v_fma_f64 v[198:199], s[14:15], v[162:163], v[180:181]
	v_mul_f64 v[182:183], v[182:183], s[38:39]
	v_add_f64 v[94:95], v[150:151], v[94:95]
	v_fma_f64 v[134:135], v[162:163], s[14:15], -v[180:181]
	v_add_f64 v[136:137], v[136:137], v[138:139]
	v_mov_b32_e32 v2, v1
	v_add_f64 v[58:59], v[198:199], v[58:59]
	v_fma_f64 v[198:199], s[10:11], v[164:165], v[182:183]
	v_mul_f64 v[184:185], v[184:185], s[2:3]
	v_mul_f64 v[186:187], v[186:187], s[36:37]
	v_add_f64 v[94:95], v[154:155], v[94:95]
	v_fma_f64 v[132:133], v[164:165], s[10:11], -v[182:183]
	v_add_f64 v[134:135], v[134:135], v[136:137]
	v_mad_u64_u32 v[2:3], s[0:1], s17, v3, v[2:3]
	v_add_f64 v[198:199], v[198:199], v[58:59]
	v_fma_f64 v[58:59], s[20:21], v[178:179], v[184:185]
	v_fmac_f64_e32 v[184:185], s[36:37], v[178:179]
	v_add_f64 v[94:95], v[156:157], v[94:95]
	v_fma_f64 v[130:131], v[166:167], s[2:3], -v[186:187]
	v_add_f64 v[134:135], v[132:133], v[134:135]
	v_mov_b32_e32 v1, v2
	v_add_f64 v[132:133], v[184:185], v[94:95]
	v_add_f64 v[130:131], v[130:131], v[134:135]
	v_lshl_add_u64 v[0:1], v[0:1], 4, v[60:61]
	v_add_u32_e32 v3, 0x64, v188
	global_store_dwordx4 v[0:1], v[130:133], off
	v_mad_u64_u32 v[0:1], s[0:1], s16, v3, 0
	v_mov_b32_e32 v2, v1
	v_mad_u64_u32 v[2:3], s[0:1], s17, v3, v[2:3]
	v_mov_b32_e32 v1, v2
	v_lshl_add_u64 v[0:1], v[0:1], 4, v[60:61]
	v_add_u32_e32 v3, 0x96, v188
	global_store_dwordx4 v[0:1], v[190:193], off
	v_mad_u64_u32 v[0:1], s[0:1], s16, v3, 0
	v_mov_b32_e32 v2, v1
	v_mad_u64_u32 v[2:3], s[0:1], s17, v3, v[2:3]
	v_mov_b32_e32 v1, v2
	;; [unrolled: 7-line block ×14, first 2 shown]
	v_add_f64 v[48:49], v[48:49], v[218:219]
	v_lshl_add_u64 v[0:1], v[0:1], 4, v[60:61]
	v_add_u32_e32 v3, 0x320, v188
	global_store_dwordx4 v[0:1], v[48:51], off
	v_mad_u64_u32 v[0:1], s[0:1], s16, v3, 0
	v_mov_b32_e32 v2, v1
	v_mad_u64_u32 v[2:3], s[0:1], s17, v3, v[2:3]
	v_add_f64 v[58:59], v[58:59], v[56:57]
	v_fma_f64 v[56:57], s[2:3], v[166:167], v[186:187]
	v_mov_b32_e32 v1, v2
	v_add_f64 v[56:57], v[56:57], v[198:199]
	v_lshl_add_u64 v[0:1], v[0:1], 4, v[60:61]
	global_store_dwordx4 v[0:1], v[56:59], off
.LBB0_17:
	s_endpgm
	.section	.rodata,"a",@progbits
	.p2align	6, 0x0
	.amdhsa_kernel fft_rtc_fwd_len850_factors_10_5_17_wgs_85_tpt_85_dp_op_CI_CI_sbrr_dirReg
		.amdhsa_group_segment_fixed_size 0
		.amdhsa_private_segment_fixed_size 0
		.amdhsa_kernarg_size 104
		.amdhsa_user_sgpr_count 2
		.amdhsa_user_sgpr_dispatch_ptr 0
		.amdhsa_user_sgpr_queue_ptr 0
		.amdhsa_user_sgpr_kernarg_segment_ptr 1
		.amdhsa_user_sgpr_dispatch_id 0
		.amdhsa_user_sgpr_kernarg_preload_length 0
		.amdhsa_user_sgpr_kernarg_preload_offset 0
		.amdhsa_user_sgpr_private_segment_size 0
		.amdhsa_uses_dynamic_stack 0
		.amdhsa_enable_private_segment 0
		.amdhsa_system_sgpr_workgroup_id_x 1
		.amdhsa_system_sgpr_workgroup_id_y 0
		.amdhsa_system_sgpr_workgroup_id_z 0
		.amdhsa_system_sgpr_workgroup_info 0
		.amdhsa_system_vgpr_workitem_id 0
		.amdhsa_next_free_vgpr 224
		.amdhsa_next_free_sgpr 56
		.amdhsa_accum_offset 224
		.amdhsa_reserve_vcc 1
		.amdhsa_float_round_mode_32 0
		.amdhsa_float_round_mode_16_64 0
		.amdhsa_float_denorm_mode_32 3
		.amdhsa_float_denorm_mode_16_64 3
		.amdhsa_dx10_clamp 1
		.amdhsa_ieee_mode 1
		.amdhsa_fp16_overflow 0
		.amdhsa_tg_split 0
		.amdhsa_exception_fp_ieee_invalid_op 0
		.amdhsa_exception_fp_denorm_src 0
		.amdhsa_exception_fp_ieee_div_zero 0
		.amdhsa_exception_fp_ieee_overflow 0
		.amdhsa_exception_fp_ieee_underflow 0
		.amdhsa_exception_fp_ieee_inexact 0
		.amdhsa_exception_int_div_zero 0
	.end_amdhsa_kernel
	.text
.Lfunc_end0:
	.size	fft_rtc_fwd_len850_factors_10_5_17_wgs_85_tpt_85_dp_op_CI_CI_sbrr_dirReg, .Lfunc_end0-fft_rtc_fwd_len850_factors_10_5_17_wgs_85_tpt_85_dp_op_CI_CI_sbrr_dirReg
                                        ; -- End function
	.section	.AMDGPU.csdata,"",@progbits
; Kernel info:
; codeLenInByte = 11796
; NumSgprs: 62
; NumVgprs: 224
; NumAgprs: 0
; TotalNumVgprs: 224
; ScratchSize: 0
; MemoryBound: 1
; FloatMode: 240
; IeeeMode: 1
; LDSByteSize: 0 bytes/workgroup (compile time only)
; SGPRBlocks: 7
; VGPRBlocks: 27
; NumSGPRsForWavesPerEU: 62
; NumVGPRsForWavesPerEU: 224
; AccumOffset: 224
; Occupancy: 2
; WaveLimiterHint : 1
; COMPUTE_PGM_RSRC2:SCRATCH_EN: 0
; COMPUTE_PGM_RSRC2:USER_SGPR: 2
; COMPUTE_PGM_RSRC2:TRAP_HANDLER: 0
; COMPUTE_PGM_RSRC2:TGID_X_EN: 1
; COMPUTE_PGM_RSRC2:TGID_Y_EN: 0
; COMPUTE_PGM_RSRC2:TGID_Z_EN: 0
; COMPUTE_PGM_RSRC2:TIDIG_COMP_CNT: 0
; COMPUTE_PGM_RSRC3_GFX90A:ACCUM_OFFSET: 55
; COMPUTE_PGM_RSRC3_GFX90A:TG_SPLIT: 0
	.text
	.p2alignl 6, 3212836864
	.fill 256, 4, 3212836864
	.type	__hip_cuid_5c8b415144d60567,@object ; @__hip_cuid_5c8b415144d60567
	.section	.bss,"aw",@nobits
	.globl	__hip_cuid_5c8b415144d60567
__hip_cuid_5c8b415144d60567:
	.byte	0                               ; 0x0
	.size	__hip_cuid_5c8b415144d60567, 1

	.ident	"AMD clang version 19.0.0git (https://github.com/RadeonOpenCompute/llvm-project roc-6.4.0 25133 c7fe45cf4b819c5991fe208aaa96edf142730f1d)"
	.section	".note.GNU-stack","",@progbits
	.addrsig
	.addrsig_sym __hip_cuid_5c8b415144d60567
	.amdgpu_metadata
---
amdhsa.kernels:
  - .agpr_count:     0
    .args:
      - .actual_access:  read_only
        .address_space:  global
        .offset:         0
        .size:           8
        .value_kind:     global_buffer
      - .offset:         8
        .size:           8
        .value_kind:     by_value
      - .actual_access:  read_only
        .address_space:  global
        .offset:         16
        .size:           8
        .value_kind:     global_buffer
      - .actual_access:  read_only
        .address_space:  global
        .offset:         24
        .size:           8
        .value_kind:     global_buffer
      - .actual_access:  read_only
        .address_space:  global
        .offset:         32
        .size:           8
        .value_kind:     global_buffer
      - .offset:         40
        .size:           8
        .value_kind:     by_value
      - .actual_access:  read_only
        .address_space:  global
        .offset:         48
        .size:           8
        .value_kind:     global_buffer
      - .actual_access:  read_only
        .address_space:  global
        .offset:         56
        .size:           8
        .value_kind:     global_buffer
      - .offset:         64
        .size:           4
        .value_kind:     by_value
      - .actual_access:  read_only
        .address_space:  global
        .offset:         72
        .size:           8
        .value_kind:     global_buffer
      - .actual_access:  read_only
        .address_space:  global
        .offset:         80
        .size:           8
        .value_kind:     global_buffer
      - .actual_access:  read_only
        .address_space:  global
        .offset:         88
        .size:           8
        .value_kind:     global_buffer
      - .actual_access:  write_only
        .address_space:  global
        .offset:         96
        .size:           8
        .value_kind:     global_buffer
    .group_segment_fixed_size: 0
    .kernarg_segment_align: 8
    .kernarg_segment_size: 104
    .language:       OpenCL C
    .language_version:
      - 2
      - 0
    .max_flat_workgroup_size: 85
    .name:           fft_rtc_fwd_len850_factors_10_5_17_wgs_85_tpt_85_dp_op_CI_CI_sbrr_dirReg
    .private_segment_fixed_size: 0
    .sgpr_count:     62
    .sgpr_spill_count: 0
    .symbol:         fft_rtc_fwd_len850_factors_10_5_17_wgs_85_tpt_85_dp_op_CI_CI_sbrr_dirReg.kd
    .uniform_work_group_size: 1
    .uses_dynamic_stack: false
    .vgpr_count:     224
    .vgpr_spill_count: 0
    .wavefront_size: 64
amdhsa.target:   amdgcn-amd-amdhsa--gfx950
amdhsa.version:
  - 1
  - 2
...

	.end_amdgpu_metadata
